;; amdgpu-corpus repo=ROCm/rocFFT kind=compiled arch=gfx906 opt=O3
	.text
	.amdgcn_target "amdgcn-amd-amdhsa--gfx906"
	.amdhsa_code_object_version 6
	.protected	fft_rtc_back_len720_factors_10_3_8_3_wgs_240_tpt_120_halfLds_dp_ip_CI_sbrr_dirReg ; -- Begin function fft_rtc_back_len720_factors_10_3_8_3_wgs_240_tpt_120_halfLds_dp_ip_CI_sbrr_dirReg
	.globl	fft_rtc_back_len720_factors_10_3_8_3_wgs_240_tpt_120_halfLds_dp_ip_CI_sbrr_dirReg
	.p2align	8
	.type	fft_rtc_back_len720_factors_10_3_8_3_wgs_240_tpt_120_halfLds_dp_ip_CI_sbrr_dirReg,@function
fft_rtc_back_len720_factors_10_3_8_3_wgs_240_tpt_120_halfLds_dp_ip_CI_sbrr_dirReg: ; @fft_rtc_back_len720_factors_10_3_8_3_wgs_240_tpt_120_halfLds_dp_ip_CI_sbrr_dirReg
; %bb.0:
	s_load_dwordx2 s[2:3], s[4:5], 0x18
	s_load_dwordx4 s[8:11], s[4:5], 0x0
	s_load_dwordx2 s[14:15], s[4:5], 0x50
	v_mul_u32_u24_e32 v1, 0x223, v0
	v_lshrrev_b32_e32 v83, 16, v1
	s_waitcnt lgkmcnt(0)
	s_load_dwordx2 s[12:13], s[2:3], 0x0
	v_cmp_lt_u64_e64 s[0:1], s[10:11], 2
	v_mov_b32_e32 v3, 0
	v_mov_b32_e32 v1, 0
	v_lshl_add_u32 v5, s6, 1, v83
	v_mov_b32_e32 v6, v3
	s_and_b64 vcc, exec, s[0:1]
	v_mov_b32_e32 v2, 0
	s_cbranch_vccnz .LBB0_8
; %bb.1:
	s_load_dwordx2 s[0:1], s[4:5], 0x10
	s_add_u32 s6, s2, 8
	s_addc_u32 s7, s3, 0
	v_mov_b32_e32 v1, 0
	v_mov_b32_e32 v2, 0
	s_waitcnt lgkmcnt(0)
	s_add_u32 s16, s0, 8
	s_addc_u32 s17, s1, 0
	s_mov_b64 s[18:19], 1
.LBB0_2:                                ; =>This Inner Loop Header: Depth=1
	s_load_dwordx2 s[20:21], s[16:17], 0x0
                                        ; implicit-def: $vgpr7_vgpr8
	s_waitcnt lgkmcnt(0)
	v_or_b32_e32 v4, s21, v6
	v_cmp_ne_u64_e32 vcc, 0, v[3:4]
	s_and_saveexec_b64 s[0:1], vcc
	s_xor_b64 s[22:23], exec, s[0:1]
	s_cbranch_execz .LBB0_4
; %bb.3:                                ;   in Loop: Header=BB0_2 Depth=1
	v_cvt_f32_u32_e32 v4, s20
	v_cvt_f32_u32_e32 v7, s21
	s_sub_u32 s0, 0, s20
	s_subb_u32 s1, 0, s21
	v_mac_f32_e32 v4, 0x4f800000, v7
	v_rcp_f32_e32 v4, v4
	v_mul_f32_e32 v4, 0x5f7ffffc, v4
	v_mul_f32_e32 v7, 0x2f800000, v4
	v_trunc_f32_e32 v7, v7
	v_mac_f32_e32 v4, 0xcf800000, v7
	v_cvt_u32_f32_e32 v7, v7
	v_cvt_u32_f32_e32 v4, v4
	v_mul_lo_u32 v8, s0, v7
	v_mul_hi_u32 v9, s0, v4
	v_mul_lo_u32 v11, s1, v4
	v_mul_lo_u32 v10, s0, v4
	v_add_u32_e32 v8, v9, v8
	v_add_u32_e32 v8, v8, v11
	v_mul_hi_u32 v9, v4, v10
	v_mul_lo_u32 v11, v4, v8
	v_mul_hi_u32 v13, v4, v8
	v_mul_hi_u32 v12, v7, v10
	v_mul_lo_u32 v10, v7, v10
	v_mul_hi_u32 v14, v7, v8
	v_add_co_u32_e32 v9, vcc, v9, v11
	v_addc_co_u32_e32 v11, vcc, 0, v13, vcc
	v_mul_lo_u32 v8, v7, v8
	v_add_co_u32_e32 v9, vcc, v9, v10
	v_addc_co_u32_e32 v9, vcc, v11, v12, vcc
	v_addc_co_u32_e32 v10, vcc, 0, v14, vcc
	v_add_co_u32_e32 v8, vcc, v9, v8
	v_addc_co_u32_e32 v9, vcc, 0, v10, vcc
	v_add_co_u32_e32 v4, vcc, v4, v8
	v_addc_co_u32_e32 v7, vcc, v7, v9, vcc
	v_mul_lo_u32 v8, s0, v7
	v_mul_hi_u32 v9, s0, v4
	v_mul_lo_u32 v10, s1, v4
	v_mul_lo_u32 v11, s0, v4
	v_add_u32_e32 v8, v9, v8
	v_add_u32_e32 v8, v8, v10
	v_mul_lo_u32 v12, v4, v8
	v_mul_hi_u32 v13, v4, v11
	v_mul_hi_u32 v14, v4, v8
	v_mul_hi_u32 v10, v7, v11
	v_mul_lo_u32 v11, v7, v11
	v_mul_hi_u32 v9, v7, v8
	v_add_co_u32_e32 v12, vcc, v13, v12
	v_addc_co_u32_e32 v13, vcc, 0, v14, vcc
	v_mul_lo_u32 v8, v7, v8
	v_add_co_u32_e32 v11, vcc, v12, v11
	v_addc_co_u32_e32 v10, vcc, v13, v10, vcc
	v_addc_co_u32_e32 v9, vcc, 0, v9, vcc
	v_add_co_u32_e32 v8, vcc, v10, v8
	v_addc_co_u32_e32 v9, vcc, 0, v9, vcc
	v_add_co_u32_e32 v4, vcc, v4, v8
	v_addc_co_u32_e32 v9, vcc, v7, v9, vcc
	v_mad_u64_u32 v[7:8], s[0:1], v5, v9, 0
	v_mul_hi_u32 v10, v5, v4
	v_add_co_u32_e32 v11, vcc, v10, v7
	v_addc_co_u32_e32 v12, vcc, 0, v8, vcc
	v_mad_u64_u32 v[7:8], s[0:1], v6, v4, 0
	v_mad_u64_u32 v[9:10], s[0:1], v6, v9, 0
	v_add_co_u32_e32 v4, vcc, v11, v7
	v_addc_co_u32_e32 v4, vcc, v12, v8, vcc
	v_addc_co_u32_e32 v7, vcc, 0, v10, vcc
	v_add_co_u32_e32 v4, vcc, v4, v9
	v_addc_co_u32_e32 v9, vcc, 0, v7, vcc
	v_mul_lo_u32 v10, s21, v4
	v_mul_lo_u32 v11, s20, v9
	v_mad_u64_u32 v[7:8], s[0:1], s20, v4, 0
	v_add3_u32 v8, v8, v11, v10
	v_sub_u32_e32 v10, v6, v8
	v_mov_b32_e32 v11, s21
	v_sub_co_u32_e32 v7, vcc, v5, v7
	v_subb_co_u32_e64 v10, s[0:1], v10, v11, vcc
	v_subrev_co_u32_e64 v11, s[0:1], s20, v7
	v_subbrev_co_u32_e64 v10, s[0:1], 0, v10, s[0:1]
	v_cmp_le_u32_e64 s[0:1], s21, v10
	v_cndmask_b32_e64 v12, 0, -1, s[0:1]
	v_cmp_le_u32_e64 s[0:1], s20, v11
	v_cndmask_b32_e64 v11, 0, -1, s[0:1]
	v_cmp_eq_u32_e64 s[0:1], s21, v10
	v_cndmask_b32_e64 v10, v12, v11, s[0:1]
	v_add_co_u32_e64 v11, s[0:1], 2, v4
	v_addc_co_u32_e64 v12, s[0:1], 0, v9, s[0:1]
	v_add_co_u32_e64 v13, s[0:1], 1, v4
	v_addc_co_u32_e64 v14, s[0:1], 0, v9, s[0:1]
	v_subb_co_u32_e32 v8, vcc, v6, v8, vcc
	v_cmp_ne_u32_e64 s[0:1], 0, v10
	v_cmp_le_u32_e32 vcc, s21, v8
	v_cndmask_b32_e64 v10, v14, v12, s[0:1]
	v_cndmask_b32_e64 v12, 0, -1, vcc
	v_cmp_le_u32_e32 vcc, s20, v7
	v_cndmask_b32_e64 v7, 0, -1, vcc
	v_cmp_eq_u32_e32 vcc, s21, v8
	v_cndmask_b32_e32 v7, v12, v7, vcc
	v_cmp_ne_u32_e32 vcc, 0, v7
	v_cndmask_b32_e64 v7, v13, v11, s[0:1]
	v_cndmask_b32_e32 v8, v9, v10, vcc
	v_cndmask_b32_e32 v7, v4, v7, vcc
.LBB0_4:                                ;   in Loop: Header=BB0_2 Depth=1
	s_andn2_saveexec_b64 s[0:1], s[22:23]
	s_cbranch_execz .LBB0_6
; %bb.5:                                ;   in Loop: Header=BB0_2 Depth=1
	v_cvt_f32_u32_e32 v4, s20
	s_sub_i32 s22, 0, s20
	v_rcp_iflag_f32_e32 v4, v4
	v_mul_f32_e32 v4, 0x4f7ffffe, v4
	v_cvt_u32_f32_e32 v4, v4
	v_mul_lo_u32 v7, s22, v4
	v_mul_hi_u32 v7, v4, v7
	v_add_u32_e32 v4, v4, v7
	v_mul_hi_u32 v4, v5, v4
	v_mul_lo_u32 v7, v4, s20
	v_add_u32_e32 v8, 1, v4
	v_sub_u32_e32 v7, v5, v7
	v_subrev_u32_e32 v9, s20, v7
	v_cmp_le_u32_e32 vcc, s20, v7
	v_cndmask_b32_e32 v7, v7, v9, vcc
	v_cndmask_b32_e32 v4, v4, v8, vcc
	v_add_u32_e32 v8, 1, v4
	v_cmp_le_u32_e32 vcc, s20, v7
	v_cndmask_b32_e32 v7, v4, v8, vcc
	v_mov_b32_e32 v8, v3
.LBB0_6:                                ;   in Loop: Header=BB0_2 Depth=1
	s_or_b64 exec, exec, s[0:1]
	v_mul_lo_u32 v4, v8, s20
	v_mul_lo_u32 v11, v7, s21
	v_mad_u64_u32 v[9:10], s[0:1], v7, s20, 0
	s_load_dwordx2 s[0:1], s[6:7], 0x0
	s_add_u32 s18, s18, 1
	v_add3_u32 v4, v10, v11, v4
	v_sub_co_u32_e32 v5, vcc, v5, v9
	v_subb_co_u32_e32 v4, vcc, v6, v4, vcc
	s_waitcnt lgkmcnt(0)
	v_mul_lo_u32 v4, s0, v4
	v_mul_lo_u32 v6, s1, v5
	v_mad_u64_u32 v[1:2], s[0:1], s0, v5, v[1:2]
	s_addc_u32 s19, s19, 0
	s_add_u32 s6, s6, 8
	v_add3_u32 v2, v6, v2, v4
	v_mov_b32_e32 v4, s10
	v_mov_b32_e32 v5, s11
	s_addc_u32 s7, s7, 0
	v_cmp_ge_u64_e32 vcc, s[18:19], v[4:5]
	s_add_u32 s16, s16, 8
	s_addc_u32 s17, s17, 0
	s_cbranch_vccnz .LBB0_9
; %bb.7:                                ;   in Loop: Header=BB0_2 Depth=1
	v_mov_b32_e32 v5, v7
	v_mov_b32_e32 v6, v8
	s_branch .LBB0_2
.LBB0_8:
	v_mov_b32_e32 v8, v6
	v_mov_b32_e32 v7, v5
.LBB0_9:
	s_lshl_b64 s[0:1], s[10:11], 3
	s_add_u32 s0, s2, s0
	s_addc_u32 s1, s3, s1
	s_load_dwordx2 s[2:3], s[0:1], 0x0
	s_load_dwordx2 s[6:7], s[4:5], 0x20
                                        ; implicit-def: $vgpr24_vgpr25
                                        ; implicit-def: $vgpr32_vgpr33
                                        ; implicit-def: $vgpr28_vgpr29
                                        ; implicit-def: $vgpr16_vgpr17
                                        ; implicit-def: $vgpr10_vgpr11
                                        ; implicit-def: $vgpr20_vgpr21
                                        ; implicit-def: $vgpr36_vgpr37
                                        ; implicit-def: $vgpr44_vgpr45
                                        ; implicit-def: $vgpr40_vgpr41
	s_waitcnt lgkmcnt(0)
	v_mad_u64_u32 v[1:2], s[0:1], s2, v7, v[1:2]
	s_mov_b32 s0, 0x2222223
	v_mul_lo_u32 v3, s2, v8
	v_mul_lo_u32 v4, s3, v7
	v_mul_hi_u32 v5, v0, s0
	v_cmp_gt_u64_e32 vcc, s[6:7], v[7:8]
	s_movk_i32 s0, 0x48
	v_add3_u32 v2, v4, v2, v3
	v_mul_u32_u24_e32 v3, 0x78, v5
	v_sub_u32_e32 v82, v0, v3
	v_cmp_gt_u32_e64 s[0:1], s0, v82
	v_lshlrev_b64 v[54:55], 4, v[1:2]
	s_and_b64 s[2:3], vcc, s[0:1]
                                        ; implicit-def: $vgpr6_vgpr7
	s_and_saveexec_b64 s[4:5], s[2:3]
	s_cbranch_execz .LBB0_11
; %bb.10:
	v_mad_u64_u32 v[0:1], s[2:3], s12, v82, 0
	v_add_u32_e32 v5, 0x48, v82
	v_mov_b32_e32 v4, s15
	v_mad_u64_u32 v[1:2], s[2:3], s13, v82, v[1:2]
	v_mad_u64_u32 v[2:3], s[2:3], s12, v5, 0
	v_add_co_u32_e64 v14, s[2:3], s14, v54
	v_addc_co_u32_e64 v15, s[2:3], v4, v55, s[2:3]
	v_mad_u64_u32 v[3:4], s[2:3], s13, v5, v[3:4]
	v_add_u32_e32 v6, 0x90, v82
	v_mad_u64_u32 v[4:5], s[2:3], s12, v6, 0
	v_lshlrev_b64 v[0:1], 4, v[0:1]
	v_add_u32_e32 v8, 0xd8, v82
	v_add_co_u32_e64 v0, s[2:3], v14, v0
	v_addc_co_u32_e64 v1, s[2:3], v15, v1, s[2:3]
	v_mad_u64_u32 v[5:6], s[2:3], s13, v6, v[5:6]
	v_mad_u64_u32 v[6:7], s[2:3], s12, v8, 0
	v_lshlrev_b64 v[2:3], 4, v[2:3]
	v_add_u32_e32 v10, 0x120, v82
	v_add_co_u32_e64 v2, s[2:3], v14, v2
	v_addc_co_u32_e64 v3, s[2:3], v15, v3, s[2:3]
	v_mad_u64_u32 v[7:8], s[2:3], s13, v8, v[7:8]
	v_mad_u64_u32 v[8:9], s[2:3], s12, v10, 0
	v_lshlrev_b64 v[4:5], 4, v[4:5]
	v_add_co_u32_e64 v12, s[2:3], v14, v4
	v_addc_co_u32_e64 v13, s[2:3], v15, v5, s[2:3]
	v_lshlrev_b64 v[4:5], 4, v[6:7]
	v_mov_b32_e32 v6, v9
	v_mad_u64_u32 v[6:7], s[2:3], s13, v10, v[6:7]
	v_add_u32_e32 v7, 0x168, v82
	v_mad_u64_u32 v[10:11], s[2:3], s12, v7, 0
	v_add_co_u32_e64 v46, s[2:3], v14, v4
	v_mov_b32_e32 v9, v6
	v_mov_b32_e32 v6, v11
	v_addc_co_u32_e64 v47, s[2:3], v15, v5, s[2:3]
	v_lshlrev_b64 v[4:5], 4, v[8:9]
	v_mad_u64_u32 v[6:7], s[2:3], s13, v7, v[6:7]
	v_add_u32_e32 v9, 0x1b0, v82
	v_mad_u64_u32 v[7:8], s[2:3], s12, v9, 0
	v_add_co_u32_e64 v48, s[2:3], v14, v4
	v_mov_b32_e32 v11, v6
	v_mov_b32_e32 v6, v8
	v_addc_co_u32_e64 v49, s[2:3], v15, v5, s[2:3]
	v_lshlrev_b64 v[4:5], 4, v[10:11]
	v_mad_u64_u32 v[8:9], s[2:3], s13, v9, v[6:7]
	v_add_u32_e32 v11, 0x1f8, v82
	v_mad_u64_u32 v[9:10], s[2:3], s12, v11, 0
	v_add_co_u32_e64 v50, s[2:3], v14, v4
	v_mov_b32_e32 v6, v10
	v_addc_co_u32_e64 v51, s[2:3], v15, v5, s[2:3]
	v_lshlrev_b64 v[4:5], 4, v[7:8]
	v_mad_u64_u32 v[6:7], s[2:3], s13, v11, v[6:7]
	v_add_u32_e32 v11, 0x240, v82
	v_mad_u64_u32 v[7:8], s[2:3], s12, v11, 0
	v_add_co_u32_e64 v52, s[2:3], v14, v4
	v_mov_b32_e32 v10, v6
	v_mov_b32_e32 v6, v8
	v_addc_co_u32_e64 v53, s[2:3], v15, v5, s[2:3]
	v_lshlrev_b64 v[4:5], 4, v[9:10]
	v_mad_u64_u32 v[8:9], s[2:3], s13, v11, v[6:7]
	v_add_u32_e32 v11, 0x288, v82
	v_mad_u64_u32 v[9:10], s[2:3], s12, v11, 0
	v_add_co_u32_e64 v56, s[2:3], v14, v4
	v_mov_b32_e32 v6, v10
	v_addc_co_u32_e64 v57, s[2:3], v15, v5, s[2:3]
	v_lshlrev_b64 v[4:5], 4, v[7:8]
	v_mad_u64_u32 v[6:7], s[2:3], s13, v11, v[6:7]
	v_add_co_u32_e64 v58, s[2:3], v14, v4
	v_mov_b32_e32 v10, v6
	v_addc_co_u32_e64 v59, s[2:3], v15, v5, s[2:3]
	v_lshlrev_b64 v[4:5], 4, v[9:10]
	v_add_co_u32_e64 v60, s[2:3], v14, v4
	v_addc_co_u32_e64 v61, s[2:3], v15, v5, s[2:3]
	global_load_dwordx4 v[38:41], v[0:1], off
	global_load_dwordx4 v[22:25], v[2:3], off
	;; [unrolled: 1-line block ×10, first 2 shown]
.LBB0_11:
	s_or_b64 exec, exec, s[4:5]
	s_waitcnt vmcnt(5)
	v_add_f64 v[0:1], v[42:43], -v[26:27]
	s_waitcnt vmcnt(1)
	v_add_f64 v[2:3], v[8:9], -v[14:15]
	v_add_f64 v[50:51], v[30:31], -v[34:35]
	s_waitcnt vmcnt(0)
	v_add_f64 v[52:53], v[4:5], -v[18:19]
	v_add_f64 v[56:57], v[18:19], v[34:35]
	s_mov_b32 s4, 0x134454ff
	s_mov_b32 s5, 0x3fee6f0e
	;; [unrolled: 1-line block ×4, first 2 shown]
	v_add_f64 v[46:47], v[2:3], v[0:1]
	v_add_f64 v[12:13], v[26:27], -v[42:43]
	v_add_f64 v[0:1], v[52:53], v[50:51]
	v_fma_f64 v[2:3], v[56:57], -0.5, v[22:23]
	v_add_f64 v[50:51], v[32:33], -v[6:7]
	v_add_f64 v[48:49], v[14:15], -v[8:9]
	;; [unrolled: 1-line block ×3, first 2 shown]
	s_mov_b32 s6, 0x4755a5e
	s_mov_b32 s7, 0x3fe2cf23
	;; [unrolled: 1-line block ×4, first 2 shown]
	v_add_f64 v[58:59], v[20:21], v[36:37]
	v_fma_f64 v[52:53], v[50:51], s[10:11], v[2:3]
	v_add_f64 v[12:13], v[48:49], v[12:13]
	v_add_f64 v[48:49], v[30:31], v[4:5]
	v_add_f64 v[60:61], v[34:35], -v[30:31]
	v_add_f64 v[62:63], v[18:19], -v[4:5]
	v_fma_f64 v[2:3], v[50:51], s[4:5], v[2:3]
	v_add_f64 v[74:75], v[30:31], -v[4:5]
	v_fma_f64 v[58:59], v[58:59], -0.5, v[24:25]
	v_fma_f64 v[64:65], v[56:57], s[18:19], v[52:53]
	v_add_f64 v[52:53], v[32:33], v[6:7]
	v_fma_f64 v[48:49], v[48:49], -0.5, v[22:23]
	v_add_f64 v[80:81], v[32:33], -v[36:37]
	v_add_f64 v[60:61], v[62:63], v[60:61]
	v_add_f64 v[62:63], v[34:35], -v[18:19]
	v_fma_f64 v[2:3], v[56:57], s[6:7], v[2:3]
	v_add_f64 v[84:85], v[6:7], -v[20:21]
	v_fma_f64 v[86:87], v[74:75], s[4:5], v[58:59]
	v_fma_f64 v[78:79], v[52:53], -0.5, v[24:25]
	v_fma_f64 v[76:77], v[56:57], s[4:5], v[48:49]
	v_fma_f64 v[56:57], v[56:57], s[10:11], v[48:49]
	v_add_f64 v[48:49], v[26:27], v[14:15]
	v_add_f64 v[52:53], v[8:9], v[42:43]
	v_add_f64 v[88:89], v[36:37], -v[32:33]
	v_add_f64 v[90:91], v[20:21], -v[6:7]
	;; [unrolled: 1-line block ×3, first 2 shown]
	v_fma_f64 v[92:93], v[62:63], s[10:11], v[78:79]
	v_add_f64 v[72:73], v[28:29], -v[16:17]
	v_add_f64 v[84:85], v[84:85], v[80:81]
	v_fma_f64 v[66:67], v[48:49], -0.5, v[38:39]
	v_fma_f64 v[68:69], v[52:53], -0.5, v[38:39]
	v_fma_f64 v[48:49], v[62:63], s[6:7], v[86:87]
	v_add_f64 v[86:87], v[90:91], v[88:89]
	s_mov_b32 s16, 0x372fe950
	v_fma_f64 v[52:53], v[74:75], s[6:7], v[92:93]
	s_mov_b32 s17, 0x3fd3c6ef
	v_fma_f64 v[76:77], v[50:51], s[18:19], v[76:77]
	v_fma_f64 v[80:81], v[70:71], s[10:11], v[66:67]
	;; [unrolled: 1-line block ×12, first 2 shown]
	v_mul_f64 v[76:77], v[48:49], s[18:19]
	s_mov_b32 s20, 0x9b97f4a8
	v_mul_f64 v[88:89], v[52:53], s[10:11]
	s_mov_b32 s21, 0x3fe9e377
	v_fma_f64 v[62:63], v[62:63], s[18:19], v[58:59]
	v_fma_f64 v[92:93], v[74:75], s[18:19], v[56:57]
	v_fma_f64 v[74:75], v[46:47], s[16:17], v[78:79]
	v_fma_f64 v[78:79], v[12:13], s[16:17], v[80:81]
	v_fma_f64 v[76:77], v[64:65], s[20:21], v[76:77]
	v_fma_f64 v[56:57], v[0:1], s[16:17], v[2:3]
	v_fma_f64 v[80:81], v[50:51], s[16:17], v[88:89]
	v_fma_f64 v[58:59], v[60:61], s[16:17], v[90:91]
	v_fma_f64 v[60:61], v[84:85], s[16:17], v[62:63]
	v_fma_f64 v[62:63], v[86:87], s[16:17], v[92:93]
	v_and_b32_e32 v83, 1, v83
	v_mov_b32_e32 v84, 0x2d0
	v_add_f64 v[0:1], v[74:75], -v[76:77]
	v_cmp_eq_u32_e64 s[2:3], 1, v83
	v_add_f64 v[2:3], v[78:79], -v[80:81]
	v_cndmask_b32_e64 v83, 0, v84, s[2:3]
	v_lshlrev_b32_e32 v83, 3, v83
	s_and_saveexec_b64 s[2:3], s[0:1]
	s_cbranch_execz .LBB0_13
; %bb.12:
	v_add_f64 v[38:39], v[42:43], v[38:39]
	v_add_f64 v[22:23], v[22:23], v[30:31]
	v_mul_f64 v[30:31], v[72:73], s[4:5]
	v_mul_f64 v[84:85], v[70:71], s[4:5]
	v_mul_f64 v[70:71], v[70:71], s[6:7]
	v_mul_f64 v[72:73], v[72:73], s[6:7]
	v_mul_f64 v[12:13], v[12:13], s[16:17]
	v_mul_f64 v[46:47], v[46:47], s[16:17]
	v_add_f64 v[38:39], v[26:27], v[38:39]
	v_add_f64 v[22:23], v[22:23], v[34:35]
	v_add_f64 v[30:31], v[68:69], -v[30:31]
	v_add_f64 v[34:35], v[84:85], v[66:67]
	v_mul_f64 v[66:67], v[60:61], s[18:19]
	s_mov_b32 s23, 0xbfd3c6ef
	s_mov_b32 s22, s16
	;; [unrolled: 1-line block ×3, first 2 shown]
	v_add_f64 v[38:39], v[14:15], v[38:39]
	v_add_f64 v[18:19], v[18:19], v[22:23]
	v_mul_f64 v[22:23], v[62:63], s[10:11]
	v_add_f64 v[30:31], v[70:71], v[30:31]
	v_add_f64 v[34:35], v[72:73], v[34:35]
	s_mov_b32 s18, s20
	v_fma_f64 v[84:85], v[56:57], s[18:19], v[66:67]
	v_add_f64 v[72:73], v[74:75], v[76:77]
	v_add_f64 v[38:39], v[8:9], v[38:39]
	v_add_f64 v[4:5], v[4:5], v[18:19]
	v_fma_f64 v[18:19], v[58:59], s[22:23], v[22:23]
	v_add_f64 v[12:13], v[12:13], v[30:31]
	v_add_f64 v[22:23], v[46:47], v[34:35]
	;; [unrolled: 1-line block ×4, first 2 shown]
	v_add_f64 v[76:77], v[38:39], -v[4:5]
	v_add_f64 v[68:69], v[18:19], v[12:13]
	v_add_f64 v[74:75], v[22:23], v[84:85]
	v_add_f64 v[80:81], v[22:23], -v[84:85]
	v_add_f64 v[78:79], v[12:13], -v[18:19]
	v_mul_u32_u24_e32 v4, 10, v82
	v_lshlrev_b32_e32 v4, 3, v4
	v_add3_u32 v4, 0, v4, v83
	ds_write_b128 v4, v[70:73]
	ds_write_b128 v4, v[66:69] offset:16
	ds_write_b128 v4, v[74:77] offset:32
	ds_write_b128 v4, v[0:3] offset:48
	ds_write_b128 v4, v[78:81] offset:64
.LBB0_13:
	s_or_b64 exec, exec, s[2:3]
	v_add_f64 v[4:5], v[28:29], v[16:17]
	v_add_f64 v[12:13], v[10:11], v[44:45]
	v_add_f64 v[38:39], v[42:43], -v[8:9]
	v_add_f64 v[66:67], v[26:27], -v[14:15]
	;; [unrolled: 1-line block ×4, first 2 shown]
	v_mul_f64 v[26:27], v[64:65], s[6:7]
	v_mul_f64 v[30:31], v[52:53], s[16:17]
	v_fma_f64 v[34:35], v[4:5], -0.5, v[40:41]
	v_fma_f64 v[42:43], v[12:13], -0.5, v[40:41]
	v_add_f64 v[4:5], v[44:45], -v[28:29]
	v_add_f64 v[12:13], v[28:29], -v[44:45]
	s_waitcnt lgkmcnt(0)
	s_barrier
	v_fma_f64 v[18:19], v[38:39], s[4:5], v[34:35]
	v_fma_f64 v[22:23], v[66:67], s[10:11], v[42:43]
	v_add_f64 v[64:65], v[8:9], v[4:5]
	v_add_f64 v[68:69], v[14:15], v[12:13]
	v_fma_f64 v[4:5], v[66:67], s[6:7], v[18:19]
	v_fma_f64 v[8:9], v[38:39], s[6:7], v[22:23]
	v_fma_f64 v[18:19], v[48:49], s[20:21], v[26:27]
	v_fma_f64 v[22:23], v[50:51], s[4:5], v[30:31]
	v_fma_f64 v[26:27], v[64:65], s[16:17], v[4:5]
	v_fma_f64 v[30:31], v[68:69], s[16:17], v[8:9]
	v_lshlrev_b32_e32 v4, 3, v82
	v_add_u32_e32 v73, 0, v4
	v_add_u32_e32 v71, v73, v83
	v_add_u32_e32 v72, 0x800, v71
	v_add3_u32 v70, 0, v83, v4
	ds_read2_b64 v[46:49], v71 offset0:120 offset1:240
	v_add_f64 v[12:13], v[26:27], -v[18:19]
	v_add_f64 v[14:15], v[30:31], -v[22:23]
	ds_read2_b64 v[50:53], v72 offset0:104 offset1:224
	ds_read_b64 v[4:5], v70
	ds_read_b64 v[8:9], v71 offset:4800
	s_waitcnt lgkmcnt(0)
	s_barrier
	s_and_saveexec_b64 s[2:3], s[0:1]
	s_cbranch_execz .LBB0_15
; %bb.14:
	v_add_f64 v[40:41], v[44:45], v[40:41]
	v_add_f64 v[24:25], v[24:25], v[32:33]
	v_mul_f64 v[44:45], v[66:67], s[4:5]
	v_mul_f64 v[32:33], v[38:39], s[4:5]
	;; [unrolled: 1-line block ×4, first 2 shown]
	s_mov_b32 s0, 0x372fe950
	s_mov_b32 s1, 0xbfd3c6ef
	v_add_f64 v[28:29], v[28:29], v[40:41]
	v_add_f64 v[24:25], v[24:25], v[36:37]
	;; [unrolled: 1-line block ×3, first 2 shown]
	v_add_f64 v[32:33], v[34:35], -v[32:33]
	s_mov_b32 s4, 0x9b97f4a8
	v_mul_f64 v[42:43], v[68:69], s[16:17]
	s_mov_b32 s5, 0xbfe9e377
	v_mul_f64 v[36:37], v[64:65], s[16:17]
	v_add_f64 v[16:17], v[16:17], v[28:29]
	v_add_f64 v[20:21], v[20:21], v[24:25]
	v_mul_f64 v[24:25], v[62:63], s[0:1]
	v_add_f64 v[28:29], v[40:41], -v[38:39]
	v_mul_f64 v[34:35], v[60:61], s[4:5]
	v_add_f64 v[32:33], v[32:33], -v[66:67]
	s_mov_b32 s0, 0x134454ff
	s_mov_b32 s1, 0x3fee6f0e
	v_add_f64 v[10:11], v[10:11], v[16:17]
	v_add_f64 v[6:7], v[6:7], v[20:21]
	v_fma_f64 v[38:39], v[58:59], s[0:1], v[24:25]
	s_mov_b32 s0, 0x4755a5e
	v_add_f64 v[28:29], v[42:43], v[28:29]
	s_mov_b32 s1, 0x3fe2cf23
	v_fma_f64 v[34:35], v[56:57], s[0:1], v[34:35]
	v_add_f64 v[32:33], v[36:37], v[32:33]
	v_add_f64 v[18:19], v[26:27], v[18:19]
	;; [unrolled: 1-line block ×4, first 2 shown]
	v_add_f64 v[26:27], v[10:11], -v[6:7]
	v_add_f64 v[22:23], v[28:29], v[38:39]
	v_add_f64 v[28:29], v[28:29], -v[38:39]
	v_mul_u32_u24_e32 v6, 0x48, v82
	v_add_f64 v[24:25], v[32:33], v[34:35]
	v_add_f64 v[30:31], v[32:33], -v[34:35]
	v_add3_u32 v6, v73, v6, v83
	ds_write_b128 v6, v[16:19]
	ds_write_b128 v6, v[20:23] offset:16
	ds_write_b128 v6, v[24:27] offset:32
	;; [unrolled: 1-line block ×4, first 2 shown]
.LBB0_15:
	s_or_b64 exec, exec, s[2:3]
	s_movk_i32 s0, 0xcd
	v_mul_lo_u16_sdwa v6, v82, s0 dst_sel:DWORD dst_unused:UNUSED_PAD src0_sel:BYTE_0 src1_sel:DWORD
	v_lshrrev_b16_e32 v45, 11, v6
	v_mul_lo_u16_e32 v6, 10, v45
	v_sub_u16_e32 v64, v82, v6
	v_mov_b32_e32 v6, 5
	v_add_u32_e32 v44, 0x78, v82
	v_lshlrev_b32_sdwa v7, v6, v64 dst_sel:DWORD dst_unused:UNUSED_PAD src0_sel:DWORD src1_sel:BYTE_0
	s_waitcnt lgkmcnt(0)
	s_barrier
	global_load_dwordx4 v[20:23], v7, s[8:9] offset:16
	global_load_dwordx4 v[34:37], v7, s[8:9]
	v_mul_lo_u16_sdwa v7, v44, s0 dst_sel:DWORD dst_unused:UNUSED_PAD src0_sel:BYTE_0 src1_sel:DWORD
	v_lshrrev_b16_e32 v65, 11, v7
	v_mul_lo_u16_e32 v7, 10, v65
	v_sub_u16_e32 v66, v44, v7
	v_lshlrev_b32_sdwa v6, v6, v66 dst_sel:DWORD dst_unused:UNUSED_PAD src0_sel:DWORD src1_sel:BYTE_0
	global_load_dwordx4 v[38:41], v6, s[8:9]
	global_load_dwordx4 v[56:59], v6, s[8:9] offset:16
	ds_read2_b64 v[16:19], v71 offset0:120 offset1:240
	ds_read2_b64 v[60:63], v72 offset0:104 offset1:224
	ds_read_b64 v[24:25], v70
	ds_read_b64 v[6:7], v71 offset:4800
	s_movk_i32 s0, 0xf0
	s_mov_b32 s2, 0xe8584caa
	s_mov_b32 s3, 0xbfebb67a
	;; [unrolled: 1-line block ×4, first 2 shown]
	v_mov_b32_e32 v67, 3
	s_movk_i32 s1, 0x5a
	s_waitcnt vmcnt(0) lgkmcnt(0)
	s_barrier
	v_mul_f64 v[26:27], v[62:63], v[22:23]
	v_mul_f64 v[10:11], v[18:19], v[36:37]
	;; [unrolled: 1-line block ×8, first 2 shown]
	v_fma_f64 v[30:31], v[48:49], v[34:35], v[10:11]
	v_fma_f64 v[32:33], v[52:53], v[20:21], v[26:27]
	v_fma_f64 v[36:37], v[18:19], v[34:35], -v[36:37]
	v_fma_f64 v[18:19], v[62:63], v[20:21], -v[22:23]
	v_fma_f64 v[26:27], v[50:51], v[38:39], v[28:29]
	v_fma_f64 v[28:29], v[8:9], v[56:57], v[42:43]
	v_fma_f64 v[40:41], v[60:61], v[38:39], -v[40:41]
	v_fma_f64 v[38:39], v[6:7], v[56:57], -v[58:59]
	v_mad_u32_u24 v50, v45, s0, 0
	v_add_f64 v[8:9], v[30:31], v[32:33]
	v_add_f64 v[10:11], v[4:5], v[30:31]
	v_add_f64 v[20:21], v[36:37], -v[18:19]
	v_add_f64 v[22:23], v[46:47], v[26:27]
	v_add_f64 v[6:7], v[26:27], v[28:29]
	v_mad_u32_u24 v51, v65, s0, 0
	v_add_f64 v[48:49], v[40:41], -v[38:39]
	v_lshlrev_b32_sdwa v52, v67, v66 dst_sel:DWORD dst_unused:UNUSED_PAD src0_sel:DWORD src1_sel:BYTE_0
	v_fma_f64 v[42:43], v[8:9], -0.5, v[4:5]
	v_add_f64 v[34:35], v[10:11], v[32:33]
	v_cmp_gt_u32_e64 s[0:1], s1, v82
	v_add_f64 v[4:5], v[22:23], v[28:29]
	v_fma_f64 v[45:46], v[6:7], -0.5, v[46:47]
	v_lshlrev_b32_sdwa v47, v67, v64 dst_sel:DWORD dst_unused:UNUSED_PAD src0_sel:DWORD src1_sel:BYTE_0
	v_fma_f64 v[8:9], v[20:21], s[2:3], v[42:43]
	v_fma_f64 v[10:11], v[20:21], s[4:5], v[42:43]
	v_add3_u32 v43, v50, v47, v83
	v_add3_u32 v42, v51, v52, v83
	v_fma_f64 v[6:7], v[48:49], s[2:3], v[45:46]
	v_fma_f64 v[20:21], v[48:49], s[4:5], v[45:46]
	ds_write2_b64 v43, v[34:35], v[8:9] offset1:10
	ds_write_b64 v43, v[10:11] offset:160
	ds_write2_b64 v42, v[4:5], v[6:7] offset1:10
	ds_write_b64 v42, v[20:21] offset:160
	s_waitcnt lgkmcnt(0)
	s_barrier
	s_and_saveexec_b64 s[6:7], s[0:1]
	s_cbranch_execz .LBB0_17
; %bb.16:
	v_add_u32_e32 v0, 0x800, v71
	ds_read2_b64 v[4:7], v0 offset0:14 offset1:104
	v_add_u32_e32 v0, 0xc00, v71
	ds_read2_b64 v[8:11], v71 offset0:90 offset1:180
	ds_read2_b64 v[20:23], v0 offset0:66 offset1:156
	ds_read_b64 v[34:35], v70
	ds_read_b64 v[2:3], v71 offset:5040
	s_waitcnt lgkmcnt(2)
	v_mov_b32_e32 v0, v22
	v_mov_b32_e32 v1, v23
.LBB0_17:
	s_or_b64 exec, exec, s[6:7]
	v_add_f64 v[22:23], v[36:37], v[18:19]
	v_add_f64 v[45:46], v[40:41], v[38:39]
	;; [unrolled: 1-line block ×3, first 2 shown]
	v_add_f64 v[30:31], v[30:31], -v[32:33]
	v_add_f64 v[32:33], v[16:17], v[40:41]
	v_add_f64 v[26:27], v[26:27], -v[28:29]
	s_waitcnt lgkmcnt(0)
	s_barrier
	v_fma_f64 v[24:25], v[22:23], -0.5, v[24:25]
	v_fma_f64 v[28:29], v[45:46], -0.5, v[16:17]
	v_add_f64 v[36:37], v[36:37], v[18:19]
	v_add_f64 v[16:17], v[32:33], v[38:39]
	v_fma_f64 v[22:23], v[30:31], s[4:5], v[24:25]
	v_fma_f64 v[24:25], v[30:31], s[2:3], v[24:25]
	;; [unrolled: 1-line block ×4, first 2 shown]
	ds_write2_b64 v43, v[36:37], v[22:23] offset1:10
	ds_write_b64 v43, v[24:25] offset:160
	ds_write2_b64 v42, v[16:17], v[18:19] offset1:10
	ds_write_b64 v42, v[30:31] offset:160
	s_waitcnt lgkmcnt(0)
	s_barrier
	s_and_saveexec_b64 s[2:3], s[0:1]
	s_cbranch_execz .LBB0_19
; %bb.18:
	v_add_u32_e32 v12, 0x800, v71
	ds_read2_b64 v[16:19], v12 offset0:14 offset1:104
	v_add_u32_e32 v12, 0xc00, v71
	ds_read2_b64 v[22:25], v71 offset0:90 offset1:180
	ds_read2_b64 v[30:33], v12 offset0:66 offset1:156
	ds_read_b64 v[36:37], v70
	ds_read_b64 v[14:15], v71 offset:5040
	s_waitcnt lgkmcnt(2)
	v_mov_b32_e32 v12, v32
	v_mov_b32_e32 v13, v33
.LBB0_19:
	s_or_b64 exec, exec, s[2:3]
	s_movk_i32 s2, 0x89
	v_mul_lo_u16_sdwa v26, v82, s2 dst_sel:DWORD dst_unused:UNUSED_PAD src0_sel:BYTE_0 src1_sel:DWORD
	v_lshrrev_b16_e32 v45, 12, v26
	v_mul_lo_u16_e32 v26, 30, v45
	v_sub_u16_e32 v46, v82, v26
	v_mov_b32_e32 v26, 7
	v_mul_u32_u24_sdwa v26, v46, v26 dst_sel:DWORD dst_unused:UNUSED_PAD src0_sel:BYTE_0 src1_sel:DWORD
	v_lshlrev_b32_e32 v32, 4, v26
	global_load_dwordx4 v[38:41], v32, s[8:9] offset:320
	global_load_dwordx4 v[47:50], v32, s[8:9] offset:352
	;; [unrolled: 1-line block ×7, first 2 shown]
	s_mov_b32 s2, 0x667f3bcd
	s_mov_b32 s3, 0x3fe6a09e
	s_waitcnt vmcnt(0) lgkmcnt(0)
	s_barrier
	v_mul_f64 v[32:33], v[22:23], v[40:41]
	v_mul_f64 v[40:41], v[8:9], v[40:41]
	;; [unrolled: 1-line block ×8, first 2 shown]
	v_fma_f64 v[8:9], v[8:9], v[38:39], v[32:33]
	v_fma_f64 v[22:23], v[22:23], v[38:39], -v[40:41]
	v_fma_f64 v[4:5], v[4:5], v[47:48], v[42:43]
	v_fma_f64 v[16:17], v[16:17], v[47:48], -v[49:50]
	;; [unrolled: 2-line block ×3, first 2 shown]
	v_fma_f64 v[14:15], v[14:15], v[60:61], -v[68:69]
	v_fma_f64 v[2:3], v[2:3], v[60:61], v[62:63]
	v_mul_f64 v[32:33], v[24:25], v[66:67]
	v_mul_f64 v[38:39], v[10:11], v[66:67]
	;; [unrolled: 1-line block ×3, first 2 shown]
	v_add_f64 v[40:41], v[8:9], -v[20:21]
	v_add_f64 v[30:31], v[22:23], -v[30:31]
	;; [unrolled: 1-line block ×4, first 2 shown]
	v_mul_f64 v[20:21], v[12:13], v[74:75]
	v_fma_f64 v[2:3], v[10:11], v[64:65], v[32:33]
	v_fma_f64 v[14:15], v[24:25], v[64:65], -v[38:39]
	v_fma_f64 v[12:13], v[12:13], v[72:73], -v[49:50]
	v_add_f64 v[10:11], v[40:41], v[42:43]
	v_add_f64 v[51:52], v[30:31], -v[47:48]
	v_fma_f64 v[24:25], v[0:1], v[72:73], v[20:21]
	v_fma_f64 v[0:1], v[8:9], 2.0, -v[40:41]
	v_fma_f64 v[20:21], v[22:23], 2.0, -v[30:31]
	;; [unrolled: 1-line block ×4, first 2 shown]
	v_add_f64 v[42:43], v[14:15], -v[12:13]
	v_fma_f64 v[22:23], v[40:41], 2.0, -v[10:11]
	v_fma_f64 v[30:31], v[30:31], 2.0, -v[51:52]
	v_add_f64 v[32:33], v[2:3], -v[24:25]
	v_mul_f64 v[24:25], v[10:11], s[2:3]
	v_mul_f64 v[40:41], v[51:52], s[2:3]
	v_add_f64 v[16:17], v[0:1], -v[4:5]
	v_add_f64 v[38:39], v[20:21], -v[8:9]
	v_mul_f64 v[22:23], v[22:23], s[2:3]
	v_mul_f64 v[30:31], v[30:31], s[2:3]
	s_and_saveexec_b64 s[2:3], s[0:1]
	s_cbranch_execz .LBB0_21
; %bb.20:
	v_mul_f64 v[4:5], v[18:19], v[28:29]
	v_fma_f64 v[2:3], v[2:3], 2.0, -v[32:33]
	v_fma_f64 v[0:1], v[0:1], 2.0, -v[16:17]
	s_movk_i32 s4, 0x780
	v_mov_b32_e32 v49, 3
	v_mad_u32_u24 v50, v45, s4, 0
	v_lshlrev_b32_sdwa v49, v49, v46 dst_sel:DWORD dst_unused:UNUSED_PAD src0_sel:DWORD src1_sel:BYTE_0
	v_add3_u32 v49, v50, v49, v83
	v_fma_f64 v[4:5], v[6:7], v[26:27], v[4:5]
	v_add_f64 v[4:5], v[34:35], -v[4:5]
	v_add_f64 v[8:9], v[4:5], v[42:43]
	v_fma_f64 v[10:11], v[34:35], 2.0, -v[4:5]
	v_fma_f64 v[4:5], v[4:5], 2.0, -v[8:9]
	v_add_f64 v[2:3], v[10:11], -v[2:3]
	v_add_f64 v[12:13], v[8:9], v[24:25]
	v_add_f64 v[34:35], v[4:5], -v[22:23]
	v_fma_f64 v[10:11], v[10:11], 2.0, -v[2:3]
	v_add_f64 v[12:13], v[40:41], v[12:13]
	v_add_f64 v[47:48], v[2:3], v[38:39]
	v_add_f64 v[34:35], v[30:31], v[34:35]
	v_add_f64 v[0:1], v[10:11], -v[0:1]
	v_fma_f64 v[8:9], v[8:9], 2.0, -v[12:13]
	v_fma_f64 v[2:3], v[2:3], 2.0, -v[47:48]
	;; [unrolled: 1-line block ×4, first 2 shown]
	ds_write2_b64 v49, v[2:3], v[8:9] offset0:60 offset1:90
	ds_write2_b64 v49, v[0:1], v[34:35] offset0:120 offset1:150
	ds_write2_b64 v49, v[10:11], v[4:5] offset1:30
	ds_write2_b64 v49, v[47:48], v[12:13] offset0:180 offset1:210
.LBB0_21:
	s_or_b64 exec, exec, s[2:3]
	v_add_u32_e32 v4, 0x800, v71
	s_waitcnt lgkmcnt(0)
	s_barrier
	ds_read2_b64 v[0:3], v71 offset0:120 offset1:240
	ds_read2_b64 v[8:11], v4 offset0:104 offset1:224
	ds_read_b64 v[4:5], v70
	ds_read_b64 v[12:13], v71 offset:4800
	s_waitcnt lgkmcnt(0)
	s_barrier
	s_and_saveexec_b64 s[2:3], s[0:1]
	s_cbranch_execz .LBB0_23
; %bb.22:
	v_mul_f64 v[6:7], v[6:7], v[28:29]
	v_fma_f64 v[14:15], v[14:15], 2.0, -v[42:43]
	v_fma_f64 v[20:21], v[20:21], 2.0, -v[38:39]
	s_movk_i32 s0, 0x780
	v_fma_f64 v[6:7], v[18:19], v[26:27], -v[6:7]
	v_add_f64 v[6:7], v[36:37], -v[6:7]
	v_fma_f64 v[18:19], v[36:37], 2.0, -v[6:7]
	v_add_f64 v[26:27], v[6:7], -v[32:33]
	v_add_f64 v[14:15], v[18:19], -v[14:15]
	v_fma_f64 v[6:7], v[6:7], 2.0, -v[26:27]
	v_add_f64 v[28:29], v[26:27], v[40:41]
	v_fma_f64 v[18:19], v[18:19], 2.0, -v[14:15]
	v_add_f64 v[30:31], v[6:7], -v[30:31]
	v_add_f64 v[16:17], v[14:15], -v[16:17]
	;; [unrolled: 1-line block ×3, first 2 shown]
	v_mov_b32_e32 v28, 3
	v_mad_u32_u24 v29, v45, s0, 0
	v_lshlrev_b32_sdwa v28, v28, v46 dst_sel:DWORD dst_unused:UNUSED_PAD src0_sel:DWORD src1_sel:BYTE_0
	v_add3_u32 v28, v29, v28, v83
	v_add_f64 v[20:21], v[18:19], -v[20:21]
	v_add_f64 v[22:23], v[30:31], -v[22:23]
	v_fma_f64 v[14:15], v[14:15], 2.0, -v[16:17]
	v_fma_f64 v[26:27], v[26:27], 2.0, -v[24:25]
	;; [unrolled: 1-line block ×4, first 2 shown]
	ds_write2_b64 v28, v[14:15], v[26:27] offset0:60 offset1:90
	ds_write2_b64 v28, v[20:21], v[22:23] offset0:120 offset1:150
	ds_write2_b64 v28, v[18:19], v[6:7] offset1:30
	ds_write2_b64 v28, v[16:17], v[24:25] offset0:180 offset1:210
.LBB0_23:
	s_or_b64 exec, exec, s[2:3]
	s_waitcnt lgkmcnt(0)
	s_barrier
	s_and_saveexec_b64 s[0:1], vcc
	s_cbranch_execz .LBB0_25
; %bb.24:
	v_lshlrev_b32_e32 v6, 1, v44
	v_mov_b32_e32 v7, 0
	v_lshlrev_b64 v[14:15], 4, v[6:7]
	v_lshlrev_b32_e32 v6, 1, v82
	v_mov_b32_e32 v24, s9
	v_add_co_u32_e32 v22, vcc, s8, v14
	v_lshlrev_b64 v[6:7], 4, v[6:7]
	v_addc_co_u32_e32 v23, vcc, v24, v15, vcc
	v_add_co_u32_e32 v6, vcc, s8, v6
	v_addc_co_u32_e32 v7, vcc, v24, v7, vcc
	global_load_dwordx4 v[14:17], v[22:23], off offset:3696
	global_load_dwordx4 v[18:21], v[22:23], off offset:3680
	s_nop 0
	global_load_dwordx4 v[22:25], v[6:7], off offset:3680
	global_load_dwordx4 v[26:29], v[6:7], off offset:3696
	v_mov_b32_e32 v42, s15
	v_add_u32_e32 v49, 0xf0, v82
	v_add_co_u32_e32 v57, vcc, s14, v54
	v_mad_u64_u32 v[40:41], s[4:5], s12, v82, 0
	v_add_u32_e32 v50, 0x1e0, v82
	s_mov_b32 s7, 0x88888889
	v_addc_co_u32_e32 v58, vcc, v42, v55, vcc
	v_mad_u64_u32 v[42:43], s[4:5], s12, v49, 0
	v_mad_u64_u32 v[45:46], s[4:5], s12, v50, 0
	v_mul_hi_u32 v51, v44, s7
	v_mad_u64_u32 v[47:48], s[4:5], s13, v82, v[41:42]
	v_mov_b32_e32 v41, v43
	v_add_u32_e32 v34, 0x800, v71
	s_movk_i32 s6, 0x1e0
	v_mov_b32_e32 v43, v46
	v_lshrrev_b32_e32 v46, 7, v51
	v_mad_u64_u32 v[48:49], s[4:5], s13, v49, v[41:42]
	ds_read2_b64 v[30:33], v71 offset0:120 offset1:240
	ds_read_b64 v[6:7], v71 offset:4800
	ds_read_b64 v[38:39], v70
	ds_read2_b64 v[34:37], v34 offset0:104 offset1:224
	v_mad_u64_u32 v[49:50], s[4:5], s13, v50, v[43:44]
	v_mad_u32_u24 v59, v46, s6, v44
	v_mad_u64_u32 v[50:51], s[4:5], s12, v59, 0
	v_mov_b32_e32 v46, v49
	v_lshlrev_b64 v[44:45], 4, v[45:46]
	v_mov_b32_e32 v46, v51
	v_mov_b32_e32 v41, v47
	v_mad_u64_u32 v[46:47], s[4:5], s13, v59, v[46:47]
	v_mov_b32_e32 v43, v48
	s_mov_b32 s0, 0xe8584caa
	s_mov_b32 s1, 0xbfebb67a
	s_mov_b32 s3, 0x3febb67a
	s_mov_b32 s2, s0
	v_lshlrev_b64 v[40:41], 4, v[40:41]
	v_lshlrev_b64 v[42:43], 4, v[42:43]
	v_add_co_u32_e32 v40, vcc, v57, v40
	v_addc_co_u32_e32 v41, vcc, v58, v41, vcc
	v_add_co_u32_e32 v42, vcc, v57, v42
	v_addc_co_u32_e32 v43, vcc, v58, v43, vcc
	;; [unrolled: 2-line block ×3, first 2 shown]
	s_waitcnt vmcnt(3)
	v_mul_f64 v[51:52], v[12:13], v[16:17]
	s_waitcnt lgkmcnt(2)
	v_mul_f64 v[16:17], v[6:7], v[16:17]
	s_waitcnt vmcnt(1)
	v_mul_f64 v[53:54], v[2:3], v[24:25]
	s_waitcnt vmcnt(0)
	v_mul_f64 v[55:56], v[10:11], v[28:29]
	v_mul_f64 v[24:25], v[32:33], v[24:25]
	s_waitcnt lgkmcnt(0)
	v_mul_f64 v[28:29], v[36:37], v[28:29]
	v_mul_f64 v[47:48], v[8:9], v[20:21]
	;; [unrolled: 1-line block ×3, first 2 shown]
	v_fma_f64 v[6:7], v[6:7], v[14:15], -v[51:52]
	v_fma_f64 v[16:17], v[12:13], v[14:15], v[16:17]
	v_fma_f64 v[12:13], v[32:33], v[22:23], -v[53:54]
	v_fma_f64 v[14:15], v[36:37], v[26:27], -v[55:56]
	v_fma_f64 v[2:3], v[2:3], v[22:23], v[24:25]
	v_fma_f64 v[10:11], v[10:11], v[26:27], v[28:29]
	v_fma_f64 v[34:35], v[34:35], v[18:19], -v[47:48]
	v_fma_f64 v[8:9], v[8:9], v[18:19], v[20:21]
	v_mov_b32_e32 v51, v46
	v_lshlrev_b64 v[24:25], 4, v[50:51]
	v_add_f64 v[46:47], v[38:39], v[12:13]
	v_add_f64 v[26:27], v[12:13], v[14:15]
	;; [unrolled: 1-line block ×6, first 2 shown]
	v_add_f64 v[20:21], v[8:9], -v[16:17]
	v_add_f64 v[28:29], v[34:35], -v[6:7]
	v_add_f64 v[34:35], v[8:9], v[16:17]
	v_add_f64 v[36:37], v[0:1], v[8:9]
	v_add_f64 v[8:9], v[2:3], -v[10:11]
	v_fma_f64 v[26:27], v[26:27], -0.5, v[38:39]
	v_add_f64 v[38:39], v[12:13], -v[14:15]
	v_fma_f64 v[32:33], v[32:33], -0.5, v[4:5]
	v_add_f64 v[2:3], v[22:23], v[6:7]
	v_add_f64 v[6:7], v[46:47], v[14:15]
	;; [unrolled: 1-line block ×3, first 2 shown]
	v_fma_f64 v[30:31], v[18:19], -0.5, v[30:31]
	v_fma_f64 v[34:35], v[34:35], -0.5, v[0:1]
	v_fma_f64 v[14:15], v[8:9], s[2:3], v[26:27]
	v_fma_f64 v[10:11], v[8:9], s[0:1], v[26:27]
	;; [unrolled: 1-line block ×4, first 2 shown]
	global_store_dwordx4 v[40:41], v[4:7], off
	global_store_dwordx4 v[42:43], v[12:15], off
	;; [unrolled: 1-line block ×3, first 2 shown]
	s_nop 0
	v_add_u32_e32 v8, 0xf0, v59
	v_fma_f64 v[18:19], v[20:21], s[0:1], v[30:31]
	v_fma_f64 v[22:23], v[20:21], s[2:3], v[30:31]
	;; [unrolled: 1-line block ×3, first 2 shown]
	v_mad_u64_u32 v[4:5], s[0:1], s12, v8, 0
	v_add_f64 v[0:1], v[36:37], v[16:17]
	v_add_co_u32_e32 v6, vcc, v57, v24
	v_mad_u64_u32 v[8:9], s[0:1], s13, v8, v[5:6]
	v_add_u32_e32 v11, 0x1e0, v59
	v_mad_u64_u32 v[9:10], s[0:1], s12, v11, 0
	v_addc_co_u32_e32 v7, vcc, v58, v25, vcc
	global_store_dwordx4 v[6:7], v[0:3], off
	v_mov_b32_e32 v5, v8
	v_mov_b32_e32 v2, v10
	v_mad_u64_u32 v[2:3], s[0:1], s13, v11, v[2:3]
	v_fma_f64 v[16:17], v[28:29], s[2:3], v[34:35]
	v_lshlrev_b64 v[0:1], 4, v[4:5]
	v_mov_b32_e32 v10, v2
	v_add_co_u32_e32 v0, vcc, v57, v0
	v_addc_co_u32_e32 v1, vcc, v58, v1, vcc
	global_store_dwordx4 v[0:1], v[20:23], off
	v_lshlrev_b64 v[0:1], 4, v[9:10]
	v_add_co_u32_e32 v0, vcc, v57, v0
	v_addc_co_u32_e32 v1, vcc, v58, v1, vcc
	global_store_dwordx4 v[0:1], v[16:19], off
.LBB0_25:
	s_endpgm
	.section	.rodata,"a",@progbits
	.p2align	6, 0x0
	.amdhsa_kernel fft_rtc_back_len720_factors_10_3_8_3_wgs_240_tpt_120_halfLds_dp_ip_CI_sbrr_dirReg
		.amdhsa_group_segment_fixed_size 0
		.amdhsa_private_segment_fixed_size 0
		.amdhsa_kernarg_size 88
		.amdhsa_user_sgpr_count 6
		.amdhsa_user_sgpr_private_segment_buffer 1
		.amdhsa_user_sgpr_dispatch_ptr 0
		.amdhsa_user_sgpr_queue_ptr 0
		.amdhsa_user_sgpr_kernarg_segment_ptr 1
		.amdhsa_user_sgpr_dispatch_id 0
		.amdhsa_user_sgpr_flat_scratch_init 0
		.amdhsa_user_sgpr_private_segment_size 0
		.amdhsa_uses_dynamic_stack 0
		.amdhsa_system_sgpr_private_segment_wavefront_offset 0
		.amdhsa_system_sgpr_workgroup_id_x 1
		.amdhsa_system_sgpr_workgroup_id_y 0
		.amdhsa_system_sgpr_workgroup_id_z 0
		.amdhsa_system_sgpr_workgroup_info 0
		.amdhsa_system_vgpr_workitem_id 0
		.amdhsa_next_free_vgpr 94
		.amdhsa_next_free_sgpr 24
		.amdhsa_reserve_vcc 1
		.amdhsa_reserve_flat_scratch 0
		.amdhsa_float_round_mode_32 0
		.amdhsa_float_round_mode_16_64 0
		.amdhsa_float_denorm_mode_32 3
		.amdhsa_float_denorm_mode_16_64 3
		.amdhsa_dx10_clamp 1
		.amdhsa_ieee_mode 1
		.amdhsa_fp16_overflow 0
		.amdhsa_exception_fp_ieee_invalid_op 0
		.amdhsa_exception_fp_denorm_src 0
		.amdhsa_exception_fp_ieee_div_zero 0
		.amdhsa_exception_fp_ieee_overflow 0
		.amdhsa_exception_fp_ieee_underflow 0
		.amdhsa_exception_fp_ieee_inexact 0
		.amdhsa_exception_int_div_zero 0
	.end_amdhsa_kernel
	.text
.Lfunc_end0:
	.size	fft_rtc_back_len720_factors_10_3_8_3_wgs_240_tpt_120_halfLds_dp_ip_CI_sbrr_dirReg, .Lfunc_end0-fft_rtc_back_len720_factors_10_3_8_3_wgs_240_tpt_120_halfLds_dp_ip_CI_sbrr_dirReg
                                        ; -- End function
	.section	.AMDGPU.csdata,"",@progbits
; Kernel info:
; codeLenInByte = 6232
; NumSgprs: 28
; NumVgprs: 94
; ScratchSize: 0
; MemoryBound: 1
; FloatMode: 240
; IeeeMode: 1
; LDSByteSize: 0 bytes/workgroup (compile time only)
; SGPRBlocks: 3
; VGPRBlocks: 23
; NumSGPRsForWavesPerEU: 28
; NumVGPRsForWavesPerEU: 94
; Occupancy: 2
; WaveLimiterHint : 1
; COMPUTE_PGM_RSRC2:SCRATCH_EN: 0
; COMPUTE_PGM_RSRC2:USER_SGPR: 6
; COMPUTE_PGM_RSRC2:TRAP_HANDLER: 0
; COMPUTE_PGM_RSRC2:TGID_X_EN: 1
; COMPUTE_PGM_RSRC2:TGID_Y_EN: 0
; COMPUTE_PGM_RSRC2:TGID_Z_EN: 0
; COMPUTE_PGM_RSRC2:TIDIG_COMP_CNT: 0
	.type	__hip_cuid_14041c81ad60f904,@object ; @__hip_cuid_14041c81ad60f904
	.section	.bss,"aw",@nobits
	.globl	__hip_cuid_14041c81ad60f904
__hip_cuid_14041c81ad60f904:
	.byte	0                               ; 0x0
	.size	__hip_cuid_14041c81ad60f904, 1

	.ident	"AMD clang version 19.0.0git (https://github.com/RadeonOpenCompute/llvm-project roc-6.4.0 25133 c7fe45cf4b819c5991fe208aaa96edf142730f1d)"
	.section	".note.GNU-stack","",@progbits
	.addrsig
	.addrsig_sym __hip_cuid_14041c81ad60f904
	.amdgpu_metadata
---
amdhsa.kernels:
  - .args:
      - .actual_access:  read_only
        .address_space:  global
        .offset:         0
        .size:           8
        .value_kind:     global_buffer
      - .offset:         8
        .size:           8
        .value_kind:     by_value
      - .actual_access:  read_only
        .address_space:  global
        .offset:         16
        .size:           8
        .value_kind:     global_buffer
      - .actual_access:  read_only
        .address_space:  global
        .offset:         24
        .size:           8
        .value_kind:     global_buffer
      - .offset:         32
        .size:           8
        .value_kind:     by_value
      - .actual_access:  read_only
        .address_space:  global
        .offset:         40
        .size:           8
        .value_kind:     global_buffer
      - .actual_access:  read_only
        .address_space:  global
        .offset:         48
        .size:           8
        .value_kind:     global_buffer
      - .offset:         56
        .size:           4
        .value_kind:     by_value
      - .actual_access:  read_only
        .address_space:  global
        .offset:         64
        .size:           8
        .value_kind:     global_buffer
      - .actual_access:  read_only
        .address_space:  global
        .offset:         72
        .size:           8
        .value_kind:     global_buffer
      - .address_space:  global
        .offset:         80
        .size:           8
        .value_kind:     global_buffer
    .group_segment_fixed_size: 0
    .kernarg_segment_align: 8
    .kernarg_segment_size: 88
    .language:       OpenCL C
    .language_version:
      - 2
      - 0
    .max_flat_workgroup_size: 240
    .name:           fft_rtc_back_len720_factors_10_3_8_3_wgs_240_tpt_120_halfLds_dp_ip_CI_sbrr_dirReg
    .private_segment_fixed_size: 0
    .sgpr_count:     28
    .sgpr_spill_count: 0
    .symbol:         fft_rtc_back_len720_factors_10_3_8_3_wgs_240_tpt_120_halfLds_dp_ip_CI_sbrr_dirReg.kd
    .uniform_work_group_size: 1
    .uses_dynamic_stack: false
    .vgpr_count:     94
    .vgpr_spill_count: 0
    .wavefront_size: 64
amdhsa.target:   amdgcn-amd-amdhsa--gfx906
amdhsa.version:
  - 1
  - 2
...

	.end_amdgpu_metadata
